;; amdgpu-corpus repo=ROCm/rocFFT kind=compiled arch=gfx1030 opt=O3
	.text
	.amdgcn_target "amdgcn-amd-amdhsa--gfx1030"
	.amdhsa_code_object_version 6
	.protected	fft_rtc_fwd_len1274_factors_2_13_7_7_wgs_182_tpt_182_halfLds_half_op_CI_CI_unitstride_sbrr_dirReg ; -- Begin function fft_rtc_fwd_len1274_factors_2_13_7_7_wgs_182_tpt_182_halfLds_half_op_CI_CI_unitstride_sbrr_dirReg
	.globl	fft_rtc_fwd_len1274_factors_2_13_7_7_wgs_182_tpt_182_halfLds_half_op_CI_CI_unitstride_sbrr_dirReg
	.p2align	8
	.type	fft_rtc_fwd_len1274_factors_2_13_7_7_wgs_182_tpt_182_halfLds_half_op_CI_CI_unitstride_sbrr_dirReg,@function
fft_rtc_fwd_len1274_factors_2_13_7_7_wgs_182_tpt_182_halfLds_half_op_CI_CI_unitstride_sbrr_dirReg: ; @fft_rtc_fwd_len1274_factors_2_13_7_7_wgs_182_tpt_182_halfLds_half_op_CI_CI_unitstride_sbrr_dirReg
; %bb.0:
	s_clause 0x2
	s_load_dwordx4 s[12:15], s[4:5], 0x0
	s_load_dwordx4 s[8:11], s[4:5], 0x58
	;; [unrolled: 1-line block ×3, first 2 shown]
	v_mul_u32_u24_e32 v1, 0x169, v0
	v_mov_b32_e32 v8, 0
	v_mov_b32_e32 v6, 0
	;; [unrolled: 1-line block ×3, first 2 shown]
	v_add_nc_u32_sdwa v10, s6, v1 dst_sel:DWORD dst_unused:UNUSED_PAD src0_sel:DWORD src1_sel:WORD_1
	v_mov_b32_e32 v11, v8
	s_waitcnt lgkmcnt(0)
	v_cmp_lt_u64_e64 s0, s[14:15], 2
	s_and_b32 vcc_lo, exec_lo, s0
	s_cbranch_vccnz .LBB0_8
; %bb.1:
	s_load_dwordx2 s[0:1], s[4:5], 0x10
	v_mov_b32_e32 v6, 0
	v_mov_b32_e32 v7, 0
	s_add_u32 s2, s18, 8
	s_addc_u32 s3, s19, 0
	v_mov_b32_e32 v1, v6
	s_add_u32 s6, s16, 8
	v_mov_b32_e32 v2, v7
	s_addc_u32 s7, s17, 0
	s_mov_b64 s[22:23], 1
	s_waitcnt lgkmcnt(0)
	s_add_u32 s20, s0, 8
	s_addc_u32 s21, s1, 0
.LBB0_2:                                ; =>This Inner Loop Header: Depth=1
	s_load_dwordx2 s[24:25], s[20:21], 0x0
                                        ; implicit-def: $vgpr3_vgpr4
	s_mov_b32 s0, exec_lo
	s_waitcnt lgkmcnt(0)
	v_or_b32_e32 v9, s25, v11
	v_cmpx_ne_u64_e32 0, v[8:9]
	s_xor_b32 s1, exec_lo, s0
	s_cbranch_execz .LBB0_4
; %bb.3:                                ;   in Loop: Header=BB0_2 Depth=1
	v_cvt_f32_u32_e32 v3, s24
	v_cvt_f32_u32_e32 v4, s25
	s_sub_u32 s0, 0, s24
	s_subb_u32 s26, 0, s25
	v_fmac_f32_e32 v3, 0x4f800000, v4
	v_rcp_f32_e32 v3, v3
	v_mul_f32_e32 v3, 0x5f7ffffc, v3
	v_mul_f32_e32 v4, 0x2f800000, v3
	v_trunc_f32_e32 v4, v4
	v_fmac_f32_e32 v3, 0xcf800000, v4
	v_cvt_u32_f32_e32 v4, v4
	v_cvt_u32_f32_e32 v3, v3
	v_mul_lo_u32 v5, s0, v4
	v_mul_hi_u32 v9, s0, v3
	v_mul_lo_u32 v12, s26, v3
	v_add_nc_u32_e32 v5, v9, v5
	v_mul_lo_u32 v9, s0, v3
	v_add_nc_u32_e32 v5, v5, v12
	v_mul_hi_u32 v12, v3, v9
	v_mul_lo_u32 v13, v3, v5
	v_mul_hi_u32 v14, v3, v5
	v_mul_hi_u32 v15, v4, v9
	v_mul_lo_u32 v9, v4, v9
	v_mul_hi_u32 v16, v4, v5
	v_mul_lo_u32 v5, v4, v5
	v_add_co_u32 v12, vcc_lo, v12, v13
	v_add_co_ci_u32_e32 v13, vcc_lo, 0, v14, vcc_lo
	v_add_co_u32 v9, vcc_lo, v12, v9
	v_add_co_ci_u32_e32 v9, vcc_lo, v13, v15, vcc_lo
	v_add_co_ci_u32_e32 v12, vcc_lo, 0, v16, vcc_lo
	v_add_co_u32 v5, vcc_lo, v9, v5
	v_add_co_ci_u32_e32 v9, vcc_lo, 0, v12, vcc_lo
	v_add_co_u32 v3, vcc_lo, v3, v5
	v_add_co_ci_u32_e32 v4, vcc_lo, v4, v9, vcc_lo
	v_mul_hi_u32 v5, s0, v3
	v_mul_lo_u32 v12, s26, v3
	v_mul_lo_u32 v9, s0, v4
	v_add_nc_u32_e32 v5, v5, v9
	v_mul_lo_u32 v9, s0, v3
	v_add_nc_u32_e32 v5, v5, v12
	v_mul_hi_u32 v12, v3, v9
	v_mul_lo_u32 v13, v3, v5
	v_mul_hi_u32 v14, v3, v5
	v_mul_hi_u32 v15, v4, v9
	v_mul_lo_u32 v9, v4, v9
	v_mul_hi_u32 v16, v4, v5
	v_mul_lo_u32 v5, v4, v5
	v_add_co_u32 v12, vcc_lo, v12, v13
	v_add_co_ci_u32_e32 v13, vcc_lo, 0, v14, vcc_lo
	v_add_co_u32 v9, vcc_lo, v12, v9
	v_add_co_ci_u32_e32 v9, vcc_lo, v13, v15, vcc_lo
	v_add_co_ci_u32_e32 v12, vcc_lo, 0, v16, vcc_lo
	v_add_co_u32 v5, vcc_lo, v9, v5
	v_add_co_ci_u32_e32 v9, vcc_lo, 0, v12, vcc_lo
	v_add_co_u32 v5, vcc_lo, v3, v5
	v_add_co_ci_u32_e32 v9, vcc_lo, v4, v9, vcc_lo
	v_mul_hi_u32 v16, v10, v5
	v_mad_u64_u32 v[12:13], null, v11, v5, 0
	v_mad_u64_u32 v[3:4], null, v10, v9, 0
	;; [unrolled: 1-line block ×3, first 2 shown]
	v_add_co_u32 v3, vcc_lo, v16, v3
	v_add_co_ci_u32_e32 v4, vcc_lo, 0, v4, vcc_lo
	v_add_co_u32 v3, vcc_lo, v3, v12
	v_add_co_ci_u32_e32 v3, vcc_lo, v4, v13, vcc_lo
	v_add_co_ci_u32_e32 v4, vcc_lo, 0, v15, vcc_lo
	v_add_co_u32 v5, vcc_lo, v3, v14
	v_add_co_ci_u32_e32 v9, vcc_lo, 0, v4, vcc_lo
	v_mul_lo_u32 v12, s25, v5
	v_mad_u64_u32 v[3:4], null, s24, v5, 0
	v_mul_lo_u32 v13, s24, v9
	v_sub_co_u32 v3, vcc_lo, v10, v3
	v_add3_u32 v4, v4, v13, v12
	v_sub_nc_u32_e32 v12, v11, v4
	v_subrev_co_ci_u32_e64 v12, s0, s25, v12, vcc_lo
	v_add_co_u32 v13, s0, v5, 2
	v_add_co_ci_u32_e64 v14, s0, 0, v9, s0
	v_sub_co_u32 v15, s0, v3, s24
	v_sub_co_ci_u32_e32 v4, vcc_lo, v11, v4, vcc_lo
	v_subrev_co_ci_u32_e64 v12, s0, 0, v12, s0
	v_cmp_le_u32_e32 vcc_lo, s24, v15
	v_cmp_eq_u32_e64 s0, s25, v4
	v_cndmask_b32_e64 v15, 0, -1, vcc_lo
	v_cmp_le_u32_e32 vcc_lo, s25, v12
	v_cndmask_b32_e64 v16, 0, -1, vcc_lo
	v_cmp_le_u32_e32 vcc_lo, s24, v3
	;; [unrolled: 2-line block ×3, first 2 shown]
	v_cndmask_b32_e64 v17, 0, -1, vcc_lo
	v_cmp_eq_u32_e32 vcc_lo, s25, v12
	v_cndmask_b32_e64 v3, v17, v3, s0
	v_cndmask_b32_e32 v12, v16, v15, vcc_lo
	v_add_co_u32 v15, vcc_lo, v5, 1
	v_add_co_ci_u32_e32 v16, vcc_lo, 0, v9, vcc_lo
	v_cmp_ne_u32_e32 vcc_lo, 0, v12
	v_cndmask_b32_e32 v4, v16, v14, vcc_lo
	v_cndmask_b32_e32 v12, v15, v13, vcc_lo
	v_cmp_ne_u32_e32 vcc_lo, 0, v3
	v_cndmask_b32_e32 v4, v9, v4, vcc_lo
	v_cndmask_b32_e32 v3, v5, v12, vcc_lo
.LBB0_4:                                ;   in Loop: Header=BB0_2 Depth=1
	s_andn2_saveexec_b32 s0, s1
	s_cbranch_execz .LBB0_6
; %bb.5:                                ;   in Loop: Header=BB0_2 Depth=1
	v_cvt_f32_u32_e32 v3, s24
	s_sub_i32 s1, 0, s24
	v_rcp_iflag_f32_e32 v3, v3
	v_mul_f32_e32 v3, 0x4f7ffffe, v3
	v_cvt_u32_f32_e32 v3, v3
	v_mul_lo_u32 v4, s1, v3
	v_mul_hi_u32 v4, v3, v4
	v_add_nc_u32_e32 v3, v3, v4
	v_mul_hi_u32 v3, v10, v3
	v_mul_lo_u32 v4, v3, s24
	v_add_nc_u32_e32 v5, 1, v3
	v_sub_nc_u32_e32 v4, v10, v4
	v_subrev_nc_u32_e32 v9, s24, v4
	v_cmp_le_u32_e32 vcc_lo, s24, v4
	v_cndmask_b32_e32 v4, v4, v9, vcc_lo
	v_cndmask_b32_e32 v3, v3, v5, vcc_lo
	v_cmp_le_u32_e32 vcc_lo, s24, v4
	v_add_nc_u32_e32 v5, 1, v3
	v_mov_b32_e32 v4, v8
	v_cndmask_b32_e32 v3, v3, v5, vcc_lo
.LBB0_6:                                ;   in Loop: Header=BB0_2 Depth=1
	s_or_b32 exec_lo, exec_lo, s0
	v_mul_lo_u32 v5, v4, s24
	v_mul_lo_u32 v9, v3, s25
	s_load_dwordx2 s[0:1], s[6:7], 0x0
	v_mad_u64_u32 v[12:13], null, v3, s24, 0
	s_load_dwordx2 s[24:25], s[2:3], 0x0
	s_add_u32 s22, s22, 1
	s_addc_u32 s23, s23, 0
	s_add_u32 s2, s2, 8
	s_addc_u32 s3, s3, 0
	s_add_u32 s6, s6, 8
	v_add3_u32 v5, v13, v9, v5
	v_sub_co_u32 v9, vcc_lo, v10, v12
	s_addc_u32 s7, s7, 0
	s_add_u32 s20, s20, 8
	v_sub_co_ci_u32_e32 v5, vcc_lo, v11, v5, vcc_lo
	s_addc_u32 s21, s21, 0
	s_waitcnt lgkmcnt(0)
	v_mul_lo_u32 v10, s0, v5
	v_mul_lo_u32 v11, s1, v9
	v_mad_u64_u32 v[6:7], null, s0, v9, v[6:7]
	v_mul_lo_u32 v5, s24, v5
	v_mul_lo_u32 v12, s25, v9
	v_mad_u64_u32 v[1:2], null, s24, v9, v[1:2]
	v_cmp_ge_u64_e64 s0, s[22:23], s[14:15]
	v_add3_u32 v7, v11, v7, v10
	v_add3_u32 v2, v12, v2, v5
	s_and_b32 vcc_lo, exec_lo, s0
	s_cbranch_vccnz .LBB0_9
; %bb.7:                                ;   in Loop: Header=BB0_2 Depth=1
	v_mov_b32_e32 v11, v4
	v_mov_b32_e32 v10, v3
	s_branch .LBB0_2
.LBB0_8:
	v_mov_b32_e32 v1, v6
	v_mov_b32_e32 v3, v10
	;; [unrolled: 1-line block ×4, first 2 shown]
.LBB0_9:
	s_load_dwordx2 s[0:1], s[4:5], 0x28
	v_mul_hi_u32 v8, 0x1681682, v0
	s_lshl_b64 s[4:5], s[14:15], 3
                                        ; implicit-def: $sgpr6
                                        ; implicit-def: $sgpr7
                                        ; implicit-def: $vgpr9
	s_add_u32 s2, s18, s4
	s_addc_u32 s3, s19, s5
	s_waitcnt lgkmcnt(0)
	v_cmp_gt_u64_e32 vcc_lo, s[0:1], v[3:4]
	v_cmp_le_u64_e64 s0, s[0:1], v[3:4]
	s_and_saveexec_b32 s1, s0
	s_xor_b32 s0, exec_lo, s1
; %bb.10:
	v_mul_u32_u24_e32 v5, 0xb6, v8
	s_mov_b32 s7, 0
	s_mov_b32 s6, 0
                                        ; implicit-def: $vgpr8
                                        ; implicit-def: $vgpr6_vgpr7
	v_sub_nc_u32_e32 v9, v0, v5
                                        ; implicit-def: $vgpr0
; %bb.11:
	s_or_saveexec_b32 s1, s0
	s_load_dwordx2 s[2:3], s[2:3], 0x0
	v_mov_b32_e32 v12, s7
	v_mov_b32_e32 v5, s6
	;; [unrolled: 1-line block ×3, first 2 shown]
                                        ; implicit-def: $vgpr15
                                        ; implicit-def: $vgpr10
                                        ; implicit-def: $vgpr19
                                        ; implicit-def: $vgpr14
                                        ; implicit-def: $vgpr16
                                        ; implicit-def: $vgpr18
                                        ; implicit-def: $vgpr23
                                        ; implicit-def: $vgpr13
                                        ; implicit-def: $vgpr20
                                        ; implicit-def: $vgpr21
                                        ; implicit-def: $vgpr26
                                        ; implicit-def: $vgpr22
                                        ; implicit-def: $vgpr11
                                        ; implicit-def: $vgpr25
	s_xor_b32 exec_lo, exec_lo, s1
	s_cbranch_execz .LBB0_15
; %bb.12:
	s_add_u32 s4, s16, s4
	s_addc_u32 s5, s17, s5
	v_mul_u32_u24_e32 v8, 0xb6, v8
	s_load_dwordx2 s[4:5], s[4:5], 0x0
	v_mov_b32_e32 v24, 0
	v_mov_b32_e32 v12, 0
                                        ; implicit-def: $vgpr25
	s_waitcnt lgkmcnt(0)
	v_mul_lo_u32 v5, s5, v3
	v_mul_lo_u32 v11, s4, v4
	v_mad_u64_u32 v[9:10], null, s4, v3, 0
	s_mov_b32 s4, exec_lo
	v_add3_u32 v10, v10, v11, v5
	v_lshlrev_b64 v[5:6], 2, v[6:7]
	v_lshlrev_b64 v[10:11], 2, v[9:10]
	v_sub_nc_u32_e32 v9, v0, v8
	v_lshlrev_b32_e32 v8, 2, v9
	v_add_co_u32 v0, s0, s8, v10
	v_add_co_ci_u32_e64 v7, s0, s9, v11, s0
                                        ; implicit-def: $vgpr11
	v_add_co_u32 v0, s0, v0, v5
	v_add_co_ci_u32_e64 v6, s0, v7, v6, s0
	v_add_co_u32 v5, s0, v0, v8
	v_add_co_ci_u32_e64 v6, s0, 0, v6, s0
	;; [unrolled: 2-line block ×3, first 2 shown]
	s_clause 0x5
	global_load_dword v10, v[5:6], off
	global_load_dword v18, v[5:6], off offset:728
	global_load_dword v13, v[7:8], off offset:1228
	;; [unrolled: 1-line block ×5, first 2 shown]
	v_cmpx_gt_u32_e32 0x5b, v9
	s_cbranch_execz .LBB0_14
; %bb.13:
	v_add_co_u32 v5, s0, 0x1000, v5
	v_add_co_ci_u32_e64 v6, s0, 0, v6, s0
	s_clause 0x1
	global_load_dword v24, v[7:8], off offset:136
	global_load_dword v25, v[5:6], off offset:636
	s_waitcnt vmcnt(1)
	v_lshrrev_b32_e32 v12, 16, v24
	s_waitcnt vmcnt(0)
	v_lshrrev_b32_e32 v11, 16, v25
.LBB0_14:
	s_or_b32 exec_lo, exec_lo, s4
	s_waitcnt vmcnt(5)
	v_lshrrev_b32_e32 v15, 16, v10
	s_waitcnt vmcnt(1)
	v_lshrrev_b32_e32 v19, 16, v14
	v_lshrrev_b32_e32 v16, 16, v18
	v_lshrrev_b32_e32 v23, 16, v13
	s_waitcnt vmcnt(0)
	v_lshrrev_b32_e32 v20, 16, v21
	v_lshrrev_b32_e32 v26, 16, v22
	v_mov_b32_e32 v5, v9
.LBB0_15:
	s_or_b32 exec_lo, exec_lo, s1
	v_sub_f16_e32 v17, v10, v14
	v_sub_f16_e32 v8, v18, v13
	;; [unrolled: 1-line block ×4, first 2 shown]
	v_add_nc_u32_e32 v7, 0x222, v9
	v_fma_f16 v10, v10, 2.0, -v17
	v_fma_f16 v22, v18, 2.0, -v8
	;; [unrolled: 1-line block ×4, first 2 shown]
	v_lshlrev_b32_e32 v0, 1, v9
	v_lshl_add_u32 v6, v9, 2, 0
	v_pack_b32_f16 v24, v10, v17
	v_pack_b32_f16 v25, v22, v8
	v_cmp_gt_u32_e64 s1, 0x5b, v9
	v_lshl_add_u32 v7, v7, 2, 0
	v_pack_b32_f16 v27, v21, v13
	ds_write2_b32 v6, v24, v25 offset1:182
	ds_write_b32 v6, v27 offset:1456
	s_and_saveexec_b32 s0, s1
	s_cbranch_execz .LBB0_17
; %bb.16:
	v_perm_b32 v24, v14, v18, 0x5040100
	ds_write_b32 v7, v24
.LBB0_17:
	s_or_b32 exec_lo, exec_lo, s0
	v_add_nc_u32_e32 v27, 0x2d8, v6
	v_add_nc_u32_e32 v28, 0x5b0, v6
	v_cmp_gt_u32_e64 s0, 0x62, v9
	v_sub_nc_u32_e32 v0, v6, v0
	s_waitcnt lgkmcnt(0)
	s_barrier
	buffer_gl0_inv
                                        ; implicit-def: $vgpr30
                                        ; implicit-def: $vgpr32
                                        ; implicit-def: $vgpr25
                                        ; implicit-def: $vgpr34
                                        ; implicit-def: $vgpr35
	s_and_saveexec_b32 s4, s0
	s_cbranch_execz .LBB0_19
; %bb.18:
	ds_read_u16 v10, v0
	ds_read_u16 v17, v0 offset:196
	ds_read_u16 v22, v0 offset:392
	;; [unrolled: 1-line block ×12, first 2 shown]
.LBB0_19:
	s_or_b32 exec_lo, exec_lo, s4
	v_sub_f16_e32 v24, v15, v19
	v_sub_f16_e32 v38, v16, v23
	;; [unrolled: 1-line block ×4, first 2 shown]
	s_waitcnt lgkmcnt(0)
	v_fma_f16 v11, v15, 2.0, -v24
	v_fma_f16 v40, v16, 2.0, -v38
	v_fma_f16 v39, v20, 2.0, -v37
	v_fma_f16 v41, v12, 2.0, -v36
	s_barrier
	v_pack_b32_f16 v15, v11, v24
	v_pack_b32_f16 v16, v40, v38
	;; [unrolled: 1-line block ×3, first 2 shown]
	buffer_gl0_inv
	ds_write_b32 v6, v15
	ds_write_b32 v27, v16
	;; [unrolled: 1-line block ×3, first 2 shown]
	s_and_saveexec_b32 s4, s1
	s_cbranch_execz .LBB0_21
; %bb.20:
	v_perm_b32 v6, v36, v41, 0x5040100
	ds_write_b32 v7, v6
.LBB0_21:
	s_or_b32 exec_lo, exec_lo, s4
	s_waitcnt lgkmcnt(0)
	s_barrier
	buffer_gl0_inv
                                        ; implicit-def: $vgpr42
                                        ; implicit-def: $vgpr43
                                        ; implicit-def: $vgpr44
                                        ; implicit-def: $vgpr45
                                        ; implicit-def: $vgpr46
	s_and_saveexec_b32 s1, s0
	s_cbranch_execz .LBB0_23
; %bb.22:
	ds_read_u16 v11, v0
	ds_read_u16 v24, v0 offset:196
	ds_read_u16 v40, v0 offset:392
	;; [unrolled: 1-line block ×12, first 2 shown]
.LBB0_23:
	s_or_b32 exec_lo, exec_lo, s1
	v_and_b32_e32 v0, 1, v9
	v_mul_u32_u24_e32 v6, 12, v0
	v_lshlrev_b32_e32 v6, 2, v6
	s_clause 0x2
	global_load_dwordx4 v[47:50], v6, s[12:13]
	global_load_dwordx4 v[51:54], v6, s[12:13] offset:16
	global_load_dwordx4 v[55:58], v6, s[12:13] offset:32
	s_waitcnt vmcnt(0) lgkmcnt(0)
	s_barrier
	buffer_gl0_inv
	v_mul_f16_sdwa v27, v24, v47 dst_sel:DWORD dst_unused:UNUSED_PAD src0_sel:DWORD src1_sel:WORD_1
	v_mul_f16_sdwa v29, v17, v47 dst_sel:DWORD dst_unused:UNUSED_PAD src0_sel:DWORD src1_sel:WORD_1
	;; [unrolled: 1-line block ×22, first 2 shown]
	v_fma_f16 v33, v17, v47, -v27
	v_mul_f16_sdwa v68, v42, v58 dst_sel:DWORD dst_unused:UNUSED_PAD src0_sel:DWORD src1_sel:WORD_1
	v_mul_f16_sdwa v27, v30, v58 dst_sel:DWORD dst_unused:UNUSED_PAD src0_sel:DWORD src1_sel:WORD_1
	v_fmac_f16_e32 v29, v24, v47
	v_fma_f16 v31, v22, v48, -v31
	v_fmac_f16_e32 v28, v40, v48
	v_fma_f16 v24, v8, v49, -v59
	;; [unrolled: 2-line block ×11, first 2 shown]
	v_fmac_f16_e32 v27, v42, v58
	v_lshrrev_b32_e32 v8, 1, v9
	s_and_saveexec_b32 s1, s0
	s_cbranch_execz .LBB0_25
; %bb.24:
	v_sub_f16_e32 v35, v29, v27
	v_add_f16_e32 v34, v33, v40
	v_sub_f16_e32 v37, v28, v26
	v_add_f16_e32 v36, v31, v32
	v_sub_f16_e32 v39, v20, v23
	v_mul_f16_e32 v47, 0xb3a8, v35
	v_add_f16_e32 v38, v24, v25
	v_mul_f16_e32 v48, 0x3770, v37
	v_sub_f16_e32 v42, v16, v19
	v_mul_f16_e32 v49, 0xb94e, v39
	v_fmamk_f16 v56, v34, 0xbbc4, v47
	v_fma_f16 v47, v34, 0xbbc4, -v47
	v_fmamk_f16 v57, v36, 0x3b15, v48
	v_fma_f16 v48, v36, 0x3b15, -v48
	v_add_f16_e32 v41, v21, v22
	v_sub_f16_e32 v44, v12, v15
	v_add_f16_e32 v47, v10, v47
	v_mul_f16_e32 v50, 0x3a95, v42
	v_fmamk_f16 v58, v38, 0xb9fd, v49
	v_add_f16_e32 v56, v10, v56
	v_fma_f16 v49, v38, 0xb9fd, -v49
	v_add_f16_e32 v47, v48, v47
	v_add_f16_e32 v43, v17, v18
	v_mul_f16_e32 v51, 0xbb7b, v44
	v_mul_f16_e32 v53, 0xb94e, v35
	v_fmamk_f16 v59, v41, 0x388b, v50
	v_add_f16_e32 v56, v57, v56
	v_fma_f16 v50, v41, 0x388b, -v50
	v_add_f16_e32 v47, v49, v47
	v_sub_f16_e32 v46, v6, v7
	v_mul_f16_e32 v54, 0x3bf1, v37
	v_fmamk_f16 v60, v43, 0xb5ac, v51
	v_add_f16_e32 v48, v58, v56
	v_fmamk_f16 v56, v34, 0xb9fd, v53
	v_fma_f16 v51, v43, 0xb5ac, -v51
	v_add_f16_e32 v47, v50, v47
	v_add_f16_e32 v45, v13, v14
	v_mul_f16_e32 v52, 0x3bf1, v46
	v_mul_f16_e32 v55, 0xba95, v39
	v_fmamk_f16 v57, v36, 0x2fb7, v54
	v_add_f16_e32 v49, v10, v56
	v_add_f16_e32 v47, v51, v47
	v_fma_f16 v51, v34, 0xb9fd, -v53
	v_fmamk_f16 v61, v45, 0x2fb7, v52
	v_fmamk_f16 v50, v38, 0x388b, v55
	v_add_f16_e32 v49, v57, v49
	v_mul_f16_e32 v56, 0x33a8, v42
	v_fma_f16 v52, v45, 0x2fb7, -v52
	v_add_f16_e32 v51, v10, v51
	v_fma_f16 v54, v36, 0x2fb7, -v54
	v_add_f16_e32 v49, v50, v49
	v_fmamk_f16 v50, v41, 0xbbc4, v56
	v_mul_f16_e32 v53, 0x3770, v44
	v_add_f16_e32 v47, v52, v47
	v_add_f16_e32 v51, v54, v51
	v_fma_f16 v52, v38, 0x388b, -v55
	v_add_f16_e32 v49, v50, v49
	v_fmamk_f16 v50, v43, 0x3b15, v53
	v_mul_f16_e32 v57, 0xbb7b, v35
	v_mul_f16_e32 v54, 0x394e, v37
	v_add_f16_e32 v51, v52, v51
	v_fma_f16 v52, v41, 0xbbc4, -v56
	v_add_f16_e32 v49, v50, v49
	v_fmamk_f16 v50, v34, 0xb5ac, v57
	v_fmamk_f16 v56, v36, 0xb9fd, v54
	v_mul_f16_e32 v58, 0x3770, v39
	v_add_f16_e32 v51, v52, v51
	v_fma_f16 v52, v43, 0x3b15, -v53
	v_add_f16_e32 v50, v10, v50
	v_mul_f16_e32 v55, 0xbb7b, v46
	v_fmamk_f16 v53, v38, 0x3b15, v58
	v_fma_f16 v54, v36, 0xb9fd, -v54
	v_add_f16_e32 v51, v52, v51
	v_fma_f16 v52, v34, 0xb5ac, -v57
	v_add_f16_e32 v50, v56, v50
	v_mul_f16_e32 v56, 0xbbf1, v42
	v_add_f16_e32 v48, v59, v48
	v_fmamk_f16 v59, v45, 0xb5ac, v55
	v_add_f16_e32 v52, v10, v52
	v_add_f16_e32 v50, v53, v50
	v_fmamk_f16 v53, v41, 0x2fb7, v56
	v_mul_f16_e32 v57, 0x33a8, v44
	v_add_f16_e32 v49, v59, v49
	v_add_f16_e32 v52, v54, v52
	v_fma_f16 v54, v38, 0x3b15, -v58
	v_fma_f16 v55, v45, 0xb5ac, -v55
	v_add_f16_e32 v50, v53, v50
	v_fmamk_f16 v53, v43, 0xbbc4, v57
	v_mul_f16_e32 v59, 0xbbf1, v35
	v_add_f16_e32 v52, v54, v52
	v_fma_f16 v54, v41, 0x2fb7, -v56
	v_add_f16_e32 v51, v55, v51
	v_add_f16_e32 v50, v53, v50
	v_fmamk_f16 v53, v34, 0x2fb7, v59
	v_mul_f16_e32 v55, 0xb3a8, v37
	v_add_f16_e32 v52, v54, v52
	v_fma_f16 v54, v43, 0xbbc4, -v57
	v_add_f16_e32 v48, v60, v48
	v_add_f16_e32 v53, v10, v53
	v_fmamk_f16 v56, v36, 0xbbc4, v55
	v_mul_f16_e32 v60, 0x3b7b, v39
	v_add_f16_e32 v52, v54, v52
	v_fma_f16 v54, v34, 0x2fb7, -v59
	v_mul_f16_e32 v57, 0x3770, v42
	v_add_f16_e32 v53, v56, v53
	v_fmamk_f16 v56, v38, 0xb5ac, v60
	v_fma_f16 v55, v36, 0xbbc4, -v55
	v_add_f16_e32 v54, v10, v54
	v_add_f16_e32 v30, v10, v33
	v_mul_f16_e32 v58, 0x3a95, v46
	v_add_f16_e32 v53, v56, v53
	v_fmamk_f16 v56, v41, 0x3b15, v57
	v_mul_f16_e32 v59, 0xba95, v44
	v_add_f16_e32 v54, v55, v54
	v_fma_f16 v55, v38, 0xb5ac, -v60
	v_add_f16_e32 v30, v30, v31
	v_add_f16_e32 v48, v61, v48
	v_fmamk_f16 v61, v45, 0x388b, v58
	v_fma_f16 v58, v45, 0x388b, -v58
	v_add_f16_e32 v53, v56, v53
	v_fmamk_f16 v56, v43, 0x388b, v59
	v_add_f16_e32 v54, v55, v54
	v_fma_f16 v55, v41, 0x3b15, -v57
	v_add_f16_e32 v30, v30, v24
	v_add_f16_e32 v52, v58, v52
	v_mul_f16_e32 v58, 0xba95, v35
	v_add_f16_e32 v53, v56, v53
	v_mul_f16_e32 v56, 0xb94e, v46
	v_add_f16_e32 v54, v55, v54
	v_fma_f16 v55, v43, 0x388b, -v59
	v_add_f16_e32 v30, v30, v21
	v_add_f16_e32 v50, v61, v50
	v_fmamk_f16 v60, v34, 0x388b, v58
	v_mul_f16_e32 v61, 0xbb7b, v37
	v_fmamk_f16 v57, v45, 0xb9fd, v56
	v_add_f16_e32 v54, v55, v54
	v_fma_f16 v55, v45, 0xb9fd, -v56
	v_fma_f16 v56, v34, 0x388b, -v58
	v_add_f16_e32 v30, v30, v17
	v_add_f16_e32 v60, v10, v60
	v_fmamk_f16 v62, v36, 0xb5ac, v61
	v_mul_f16_e32 v63, 0xb3a8, v39
	v_add_f16_e32 v54, v55, v54
	v_add_f16_e32 v55, v10, v56
	v_fma_f16 v56, v36, 0xb5ac, -v61
	v_mul_f16_e32 v35, 0xb770, v35
	v_add_f16_e32 v30, v30, v13
	v_add_f16_e32 v53, v57, v53
	;; [unrolled: 1-line block ×3, first 2 shown]
	v_mul_f16_e32 v60, 0x394e, v42
	v_add_f16_e32 v55, v56, v55
	v_fma_f16 v56, v38, 0xbbc4, -v63
	v_fma_f16 v62, v34, 0x3b15, -v35
	v_mul_f16_e32 v37, 0xba95, v37
	v_add_f16_e32 v30, v30, v14
	v_fmamk_f16 v58, v41, 0xb9fd, v60
	v_add_f16_e32 v55, v56, v55
	v_fma_f16 v56, v41, 0xb9fd, -v60
	v_fmamk_f16 v34, v34, 0x3b15, v35
	v_add_f16_e32 v35, v10, v62
	v_fma_f16 v60, v36, 0x388b, -v37
	v_mul_f16_e32 v39, 0xbbf1, v39
	v_add_f16_e32 v30, v30, v18
	v_add_f16_e32 v10, v10, v34
	v_fmamk_f16 v34, v36, 0x388b, v37
	v_add_f16_e32 v35, v60, v35
	v_fma_f16 v36, v38, 0x2fb7, -v39
	v_mul_f16_e32 v37, 0xbb7b, v42
	v_fmamk_f16 v59, v38, 0xbbc4, v63
	v_add_f16_e32 v30, v30, v22
	v_add_f16_e32 v10, v34, v10
	v_fmamk_f16 v34, v38, 0x2fb7, v39
	v_add_f16_e32 v35, v36, v35
	v_fma_f16 v36, v41, 0xb5ac, -v37
	v_mul_f16_e32 v38, 0xb94e, v44
	v_add_f16_e32 v57, v59, v57
	v_mul_f16_e32 v59, 0x3bf1, v44
	v_add_f16_e32 v30, v30, v25
	v_add_f16_e32 v10, v34, v10
	v_fmamk_f16 v34, v41, 0xb5ac, v37
	v_add_f16_e32 v35, v36, v35
	v_fma_f16 v36, v43, 0xb9fd, -v38
	v_mul_u32_u24_e32 v37, 26, v8
	v_mul_f16_e32 v41, 0xb3a8, v46
	v_mul_f16_e32 v61, 0x3770, v46
	v_add_f16_e32 v55, v56, v55
	v_fma_f16 v42, v43, 0x2fb7, -v59
	v_add_f16_e32 v30, v30, v32
	v_add_f16_e32 v57, v58, v57
	v_fmamk_f16 v58, v43, 0x2fb7, v59
	v_add_f16_e32 v10, v34, v10
	v_fmamk_f16 v34, v43, 0xb9fd, v38
	v_add_f16_e32 v35, v36, v35
	v_or_b32_e32 v36, v37, v0
	v_fma_f16 v37, v45, 0xbbc4, -v41
	v_add_f16_e32 v39, v42, v55
	v_fma_f16 v38, v45, 0x3b15, -v61
	v_add_f16_e32 v30, v30, v40
	v_add_f16_e32 v57, v58, v57
	v_fmamk_f16 v58, v45, 0x3b15, v61
	v_add_f16_e32 v10, v34, v10
	v_fmamk_f16 v34, v45, 0xbbc4, v41
	v_lshl_add_u32 v36, v36, 1, 0
	v_add_f16_e32 v35, v37, v35
	v_add_f16_e32 v37, v38, v39
	;; [unrolled: 1-line block ×4, first 2 shown]
	ds_write_b16 v36, v30
	ds_write_b16 v36, v35 offset:4
	ds_write_b16 v36, v37 offset:8
	;; [unrolled: 1-line block ×12, first 2 shown]
.LBB0_25:
	s_or_b32 exec_lo, exec_lo, s1
	v_lshl_add_u32 v10, v9, 1, 0
	s_waitcnt lgkmcnt(0)
	s_barrier
	buffer_gl0_inv
	ds_read_u16 v30, v10
	ds_read_u16 v39, v10 offset:364
	ds_read_u16 v38, v10 offset:728
	;; [unrolled: 1-line block ×6, first 2 shown]
	s_waitcnt lgkmcnt(0)
	s_barrier
	buffer_gl0_inv
	s_and_saveexec_b32 s1, s0
	s_cbranch_execz .LBB0_27
; %bb.26:
	v_add_f16_e32 v41, v11, v29
	v_sub_f16_e32 v33, v33, v40
	v_add_f16_e32 v40, v28, v26
	v_add_f16_e32 v29, v29, v27
	v_sub_f16_e32 v31, v31, v32
	v_add_f16_e32 v28, v41, v28
	v_mul_f16_e32 v32, 0xb770, v33
	v_mul_f16_e32 v41, 0xba95, v33
	;; [unrolled: 1-line block ×4, first 2 shown]
	v_add_f16_e32 v28, v28, v20
	v_mul_f16_e32 v44, 0xb94e, v33
	v_mul_f16_e32 v33, 0xb3a8, v33
	;; [unrolled: 1-line block ×4, first 2 shown]
	v_add_f16_e32 v28, v28, v16
	v_fmamk_f16 v49, v29, 0x3b15, v32
	v_fma_f16 v32, v29, 0x3b15, -v32
	v_fmamk_f16 v50, v29, 0x388b, v41
	v_fma_f16 v41, v29, 0x388b, -v41
	v_add_f16_e32 v28, v28, v12
	v_mul_f16_e32 v47, 0xb3a8, v31
	v_mul_f16_e32 v48, 0x394e, v31
	v_fmamk_f16 v51, v29, 0x2fb7, v42
	v_fma_f16 v42, v29, 0x2fb7, -v42
	v_add_f16_e32 v28, v28, v6
	v_fmamk_f16 v52, v29, 0xb5ac, v43
	v_fma_f16 v43, v29, 0xb5ac, -v43
	v_fmamk_f16 v53, v29, 0xb9fd, v44
	v_fma_f16 v44, v29, 0xb9fd, -v44
	v_add_f16_e32 v28, v28, v7
	v_fmamk_f16 v54, v29, 0xbbc4, v33
	v_fma_f16 v29, v29, 0xbbc4, -v33
	v_fmamk_f16 v33, v40, 0x388b, v45
	v_fma_f16 v45, v40, 0x388b, -v45
	v_add_f16_e32 v28, v28, v15
	v_fmamk_f16 v55, v40, 0xb5ac, v46
	v_fma_f16 v46, v40, 0xb5ac, -v46
	v_add_f16_e32 v49, v11, v49
	v_add_f16_e32 v32, v11, v32
	;; [unrolled: 1-line block ×17, first 2 shown]
	v_fmamk_f16 v33, v40, 0xbbc4, v47
	v_add_f16_e32 v41, v46, v41
	v_fma_f16 v45, v40, 0xbbc4, -v47
	v_fmamk_f16 v46, v40, 0xb9fd, v48
	v_fma_f16 v47, v40, 0xb9fd, -v48
	v_mul_f16_e32 v48, 0x3bf1, v31
	v_sub_f16_e32 v24, v24, v25
	v_add_f16_e32 v42, v45, v42
	v_add_f16_e32 v45, v46, v52
	v_mul_f16_e32 v31, 0x3770, v31
	v_fma_f16 v46, v40, 0x2fb7, -v48
	v_add_f16_e32 v20, v20, v23
	v_mul_f16_e32 v23, 0xbbf1, v24
	v_add_f16_e32 v43, v47, v43
	v_fmamk_f16 v25, v40, 0x2fb7, v48
	v_fmamk_f16 v47, v40, 0x3b15, v31
	v_fma_f16 v31, v40, 0x3b15, -v31
	v_add_f16_e32 v40, v46, v44
	v_fmamk_f16 v44, v20, 0x2fb7, v23
	v_mul_f16_e32 v46, 0xb3a8, v24
	v_add_f16_e32 v26, v26, v27
	v_add_f16_e32 v27, v55, v50
	;; [unrolled: 1-line block ×4, first 2 shown]
	v_fmamk_f16 v31, v20, 0xbbc4, v46
	v_mul_f16_e32 v44, 0x3b7b, v24
	v_add_f16_e32 v33, v33, v51
	v_fma_f16 v23, v20, 0x2fb7, -v23
	v_sub_f16_e32 v21, v21, v22
	v_add_f16_e32 v27, v31, v27
	v_fmamk_f16 v31, v20, 0xb5ac, v44
	v_add_f16_e32 v25, v25, v53
	v_fma_f16 v46, v20, 0xbbc4, -v46
	v_add_f16_e32 v23, v23, v32
	v_mul_f16_e32 v32, 0x3770, v24
	v_add_f16_e32 v31, v31, v33
	v_mul_f16_e32 v33, 0xba95, v24
	v_mul_f16_e32 v24, 0xb94e, v24
	v_add_f16_e32 v16, v16, v19
	v_mul_f16_e32 v19, 0xbb7b, v21
	v_add_f16_e32 v28, v47, v28
	v_fmamk_f16 v22, v20, 0x388b, v33
	v_fma_f16 v33, v20, 0x388b, -v33
	v_add_f16_e32 v41, v46, v41
	v_fma_f16 v44, v20, 0xb5ac, -v44
	v_fmamk_f16 v46, v20, 0x3b15, v32
	v_fma_f16 v32, v20, 0x3b15, -v32
	v_add_f16_e32 v22, v22, v25
	v_fmamk_f16 v25, v20, 0xb9fd, v24
	v_add_f16_e32 v33, v33, v40
	v_fma_f16 v20, v20, 0xb9fd, -v24
	v_fmamk_f16 v24, v16, 0xb5ac, v19
	v_mul_f16_e32 v40, 0x394e, v21
	v_add_f16_e32 v25, v25, v28
	v_mul_f16_e32 v28, 0x3770, v21
	v_add_f16_e32 v11, v20, v11
	v_add_f16_e32 v20, v24, v29
	v_fmamk_f16 v24, v16, 0xb9fd, v40
	v_fma_f16 v19, v16, 0xb5ac, -v19
	v_mul_f16_e32 v29, 0xbbf1, v21
	v_sub_f16_e32 v17, v17, v18
	v_add_f16_e32 v32, v32, v43
	v_add_f16_e32 v24, v24, v27
	v_fmamk_f16 v27, v16, 0x3b15, v28
	v_add_f16_e32 v19, v19, v23
	v_fma_f16 v23, v16, 0xb9fd, -v40
	v_fmamk_f16 v40, v16, 0x2fb7, v29
	v_fma_f16 v29, v16, 0x2fb7, -v29
	v_add_f16_e32 v27, v27, v31
	v_mul_f16_e32 v31, 0x33a8, v21
	v_mul_f16_e32 v18, 0x3a95, v21
	v_add_f16_e32 v12, v12, v15
	v_mul_f16_e32 v15, 0xb94e, v17
	v_fma_f16 v28, v16, 0x3b15, -v28
	v_add_f16_e32 v29, v29, v32
	v_fmamk_f16 v21, v16, 0xbbc4, v31
	v_fma_f16 v31, v16, 0xbbc4, -v31
	v_fmamk_f16 v32, v16, 0x388b, v18
	v_fma_f16 v16, v16, 0x388b, -v18
	v_fmamk_f16 v18, v12, 0xb9fd, v15
	v_add_f16_e32 v42, v44, v42
	v_add_f16_e32 v21, v21, v22
	;; [unrolled: 1-line block ×3, first 2 shown]
	v_mul_f16_e32 v31, 0x3bf1, v17
	v_fma_f16 v15, v12, 0xb9fd, -v15
	v_add_f16_e32 v11, v16, v11
	v_add_f16_e32 v16, v18, v20
	v_mul_f16_e32 v18, 0xba95, v17
	v_add_f16_e32 v28, v28, v42
	v_add_f16_e32 v25, v32, v25
	v_fmamk_f16 v20, v12, 0x2fb7, v31
	v_add_f16_e32 v15, v15, v19
	v_fma_f16 v19, v12, 0x2fb7, -v31
	v_mul_f16_e32 v31, 0x33a8, v17
	v_fmamk_f16 v32, v12, 0x388b, v18
	v_fma_f16 v18, v12, 0x388b, -v18
	v_add_f16_e32 v23, v23, v41
	v_add_f16_e32 v20, v20, v24
	v_sub_f16_e32 v13, v13, v14
	v_add_f16_e32 v24, v32, v27
	v_fma_f16 v27, v12, 0xbbc4, -v31
	v_add_f16_e32 v18, v18, v28
	v_mul_f16_e32 v28, 0x3770, v17
	v_mul_f16_e32 v17, 0xbb7b, v17
	v_add_f16_e32 v19, v19, v23
	v_fmamk_f16 v23, v12, 0xbbc4, v31
	v_add_f16_e32 v27, v27, v29
	v_fmamk_f16 v14, v12, 0x3b15, v28
	v_fma_f16 v28, v12, 0x3b15, -v28
	v_fmamk_f16 v29, v12, 0xb5ac, v17
	v_add_f16_e32 v6, v6, v7
	v_mul_f16_e32 v7, 0xb3a8, v13
	v_fma_f16 v12, v12, 0xb5ac, -v17
	v_add_f16_e32 v44, v46, v45
	v_add_f16_e32 v14, v14, v21
	;; [unrolled: 1-line block ×4, first 2 shown]
	v_fmamk_f16 v22, v6, 0xbbc4, v7
	v_fma_f16 v7, v6, 0xbbc4, -v7
	v_mul_f16_e32 v25, 0x3770, v13
	v_add_f16_e32 v11, v12, v11
	v_mul_f16_e32 v12, 0xb94e, v13
	v_add_f16_e32 v40, v40, v44
	v_add_f16_e32 v16, v22, v16
	;; [unrolled: 1-line block ×3, first 2 shown]
	v_fmamk_f16 v15, v6, 0x3b15, v25
	v_fma_f16 v22, v6, 0x3b15, -v25
	v_fmamk_f16 v25, v6, 0xb9fd, v12
	v_mul_f16_e32 v28, 0x3a95, v13
	v_mul_u32_u24_e32 v8, 26, v8
	v_add_f16_e32 v23, v23, v40
	v_fma_f16 v12, v6, 0xb9fd, -v12
	v_add_f16_e32 v15, v15, v20
	v_add_f16_e32 v19, v22, v19
	;; [unrolled: 1-line block ×3, first 2 shown]
	v_fmamk_f16 v22, v6, 0x388b, v28
	v_mul_f16_e32 v24, 0xbb7b, v13
	v_mul_f16_e32 v13, 0x3bf1, v13
	v_or_b32_e32 v0, v8, v0
	v_add_f16_e32 v12, v12, v18
	v_fma_f16 v18, v6, 0x388b, -v28
	v_add_f16_e32 v22, v22, v23
	v_fmamk_f16 v8, v6, 0xb5ac, v24
	v_fma_f16 v23, v6, 0xb5ac, -v24
	v_fmamk_f16 v24, v6, 0x2fb7, v13
	v_fma_f16 v6, v6, 0x2fb7, -v13
	v_lshl_add_u32 v0, v0, 1, 0
	v_add_f16_e32 v18, v18, v27
	v_add_f16_e32 v8, v8, v14
	;; [unrolled: 1-line block ×5, first 2 shown]
	ds_write_b16 v0, v26
	ds_write_b16 v0, v16 offset:4
	ds_write_b16 v0, v15 offset:8
	;; [unrolled: 1-line block ×12, first 2 shown]
.LBB0_27:
	s_or_b32 exec_lo, exec_lo, s1
	v_and_b32_e32 v0, 0xff, v9
	v_mov_b32_e32 v7, 6
	s_waitcnt lgkmcnt(0)
	s_barrier
	buffer_gl0_inv
	v_mul_lo_u16 v0, 0x4f, v0
	v_mov_b32_e32 v17, 0x16c
	v_mov_b32_e32 v19, 1
	v_lshrrev_b16 v0, 11, v0
	v_mul_lo_u16 v6, v0, 26
	v_mul_u32_u24_sdwa v0, v0, v17 dst_sel:DWORD dst_unused:UNUSED_PAD src0_sel:WORD_0 src1_sel:DWORD
	v_sub_nc_u16 v8, v9, v6
	v_mul_u32_u24_sdwa v6, v8, v7 dst_sel:DWORD dst_unused:UNUSED_PAD src0_sel:BYTE_0 src1_sel:DWORD
	v_lshlrev_b32_sdwa v8, v19, v8 dst_sel:DWORD dst_unused:UNUSED_PAD src0_sel:DWORD src1_sel:BYTE_0
	v_lshlrev_b32_e32 v6, 2, v6
	v_add3_u32 v19, 0, v0, v8
	s_clause 0x1
	global_load_dwordx4 v[11:14], v6, s[12:13] offset:96
	global_load_dwordx2 v[6:7], v6, s[12:13] offset:112
	ds_read_u16 v15, v10 offset:364
	ds_read_u16 v16, v10 offset:728
	;; [unrolled: 1-line block ×6, first 2 shown]
	ds_read_u16 v17, v10
	s_waitcnt vmcnt(0) lgkmcnt(0)
	s_barrier
	buffer_gl0_inv
	v_mul_f16_sdwa v0, v15, v11 dst_sel:DWORD dst_unused:UNUSED_PAD src0_sel:DWORD src1_sel:WORD_1
	v_mul_f16_sdwa v8, v39, v11 dst_sel:DWORD dst_unused:UNUSED_PAD src0_sel:DWORD src1_sel:WORD_1
	v_mul_f16_sdwa v23, v16, v12 dst_sel:DWORD dst_unused:UNUSED_PAD src0_sel:DWORD src1_sel:WORD_1
	v_mul_f16_sdwa v29, v21, v6 dst_sel:DWORD dst_unused:UNUSED_PAD src0_sel:DWORD src1_sel:WORD_1
	v_mul_f16_sdwa v32, v22, v7 dst_sel:DWORD dst_unused:UNUSED_PAD src0_sel:DWORD src1_sel:WORD_1
	v_mul_f16_sdwa v33, v37, v7 dst_sel:DWORD dst_unused:UNUSED_PAD src0_sel:DWORD src1_sel:WORD_1
	v_mul_f16_sdwa v24, v38, v12 dst_sel:DWORD dst_unused:UNUSED_PAD src0_sel:DWORD src1_sel:WORD_1
	v_mul_f16_sdwa v25, v18, v13 dst_sel:DWORD dst_unused:UNUSED_PAD src0_sel:DWORD src1_sel:WORD_1
	v_mul_f16_sdwa v26, v36, v13 dst_sel:DWORD dst_unused:UNUSED_PAD src0_sel:DWORD src1_sel:WORD_1
	v_mul_f16_sdwa v27, v20, v14 dst_sel:DWORD dst_unused:UNUSED_PAD src0_sel:DWORD src1_sel:WORD_1
	v_mul_f16_sdwa v28, v35, v14 dst_sel:DWORD dst_unused:UNUSED_PAD src0_sel:DWORD src1_sel:WORD_1
	v_mul_f16_sdwa v31, v34, v6 dst_sel:DWORD dst_unused:UNUSED_PAD src0_sel:DWORD src1_sel:WORD_1
	v_fma_f16 v0, v39, v11, -v0
	v_fmac_f16_e32 v8, v15, v11
	v_fma_f16 v11, v38, v12, -v23
	v_fma_f16 v15, v37, v7, -v32
	v_fmac_f16_e32 v33, v22, v7
	v_fma_f16 v7, v34, v6, -v29
	v_fmac_f16_e32 v24, v16, v12
	;; [unrolled: 2-line block ×4, first 2 shown]
	v_fmac_f16_e32 v31, v21, v6
	v_add_f16_e32 v6, v0, v15
	v_sub_f16_e32 v0, v0, v15
	v_add_f16_e32 v15, v11, v7
	v_add_f16_e32 v14, v8, v33
	;; [unrolled: 1-line block ×3, first 2 shown]
	v_sub_f16_e32 v7, v11, v7
	v_sub_f16_e32 v11, v24, v31
	v_add_f16_e32 v18, v12, v13
	v_add_f16_e32 v20, v26, v28
	v_sub_f16_e32 v12, v13, v12
	v_sub_f16_e32 v13, v28, v26
	v_add_f16_e32 v21, v15, v6
	v_sub_f16_e32 v8, v8, v33
	v_add_f16_e32 v22, v16, v14
	v_sub_f16_e32 v23, v15, v6
	v_sub_f16_e32 v24, v16, v14
	;; [unrolled: 1-line block ×6, first 2 shown]
	v_add_f16_e32 v25, v12, v7
	v_add_f16_e32 v26, v13, v11
	v_sub_f16_e32 v27, v12, v7
	v_sub_f16_e32 v28, v13, v11
	;; [unrolled: 1-line block ×3, first 2 shown]
	v_add_f16_e32 v18, v18, v21
	v_sub_f16_e32 v11, v11, v8
	v_sub_f16_e32 v12, v0, v12
	;; [unrolled: 1-line block ×3, first 2 shown]
	v_add_f16_e32 v20, v20, v22
	v_add_f16_e32 v0, v25, v0
	;; [unrolled: 1-line block ×3, first 2 shown]
	v_mul_f16_e32 v6, 0x3a52, v6
	v_mul_f16_e32 v14, 0x3a52, v14
	;; [unrolled: 1-line block ×7, first 2 shown]
	v_add_f16_e32 v29, v30, v18
	v_mul_f16_e32 v28, 0x3b00, v11
	v_fmamk_f16 v15, v15, 0x2b26, v6
	v_fmamk_f16 v16, v16, 0x2b26, v14
	v_fma_f16 v21, v23, 0x39e0, -v21
	v_fma_f16 v22, v24, 0x39e0, -v22
	;; [unrolled: 1-line block ×4, first 2 shown]
	v_fmamk_f16 v23, v12, 0x3574, v25
	v_fmamk_f16 v24, v13, 0x3574, v26
	v_fma_f16 v25, v7, 0x3b00, -v25
	v_fma_f16 v7, v11, 0x3b00, -v26
	;; [unrolled: 1-line block ×3, first 2 shown]
	v_fmamk_f16 v12, v18, 0xbcab, v29
	v_add_f16_e32 v17, v17, v20
	v_fma_f16 v11, v13, 0xb574, -v28
	v_fmac_f16_e32 v23, 0x370e, v0
	v_fmac_f16_e32 v24, 0x370e, v8
	;; [unrolled: 1-line block ×4, first 2 shown]
	v_add_f16_e32 v0, v15, v12
	v_fmamk_f16 v13, v20, 0xbcab, v17
	v_fmac_f16_e32 v11, 0x370e, v8
	v_add_f16_e32 v6, v6, v12
	v_fmac_f16_e32 v7, 0x370e, v8
	v_add_f16_e32 v8, v21, v12
	v_add_f16_e32 v12, v24, v0
	;; [unrolled: 1-line block ×6, first 2 shown]
	v_sub_f16_e32 v14, v8, v7
	v_add_f16_e32 v7, v7, v8
	v_sub_f16_e32 v6, v6, v11
	v_sub_f16_e32 v0, v0, v24
	ds_write_b16 v19, v29
	ds_write_b16 v19, v12 offset:52
	ds_write_b16 v19, v13 offset:104
	;; [unrolled: 1-line block ×6, first 2 shown]
	s_waitcnt lgkmcnt(0)
	s_barrier
	buffer_gl0_inv
	ds_read_u16 v0, v10
	ds_read_u16 v12, v10 offset:364
	ds_read_u16 v7, v10 offset:728
	;; [unrolled: 1-line block ×6, first 2 shown]
	v_sub_f16_e32 v6, v15, v23
	v_sub_f16_e32 v20, v18, v26
	v_add_f16_e32 v21, v25, v16
	v_sub_f16_e32 v16, v16, v25
	v_add_f16_e32 v18, v26, v18
	v_add_f16_e32 v15, v23, v15
	s_waitcnt lgkmcnt(0)
	s_barrier
	buffer_gl0_inv
	ds_write_b16 v19, v17
	ds_write_b16 v19, v6 offset:52
	ds_write_b16 v19, v20 offset:104
	;; [unrolled: 1-line block ×6, first 2 shown]
	s_waitcnt lgkmcnt(0)
	s_barrier
	buffer_gl0_inv
	s_and_saveexec_b32 s0, vcc_lo
	s_cbranch_execz .LBB0_29
; %bb.28:
	v_mul_u32_u24_e32 v6, 6, v9
	v_mul_lo_u32 v9, s2, v4
	v_lshlrev_b64 v[1:2], 2, v[1:2]
	v_lshlrev_b32_e32 v6, 2, v6
	s_clause 0x1
	global_load_dwordx4 v[15:18], v6, s[12:13] offset:720
	global_load_dwordx2 v[19:20], v6, s[12:13] offset:736
	v_mul_lo_u32 v6, s3, v3
	v_mad_u64_u32 v[3:4], null, s2, v3, 0
	v_add3_u32 v4, v4, v9, v6
	ds_read_u16 v9, v10 offset:364
	ds_read_u16 v21, v10 offset:2184
	;; [unrolled: 1-line block ×6, first 2 shown]
	ds_read_u16 v10, v10
	v_mov_b32_e32 v6, 0
	v_lshlrev_b64 v[3:4], 2, v[3:4]
	v_add_co_u32 v26, vcc_lo, s10, v3
	v_add_co_ci_u32_e32 v27, vcc_lo, s11, v4, vcc_lo
	v_lshlrev_b64 v[3:4], 2, v[5:6]
	v_add_co_u32 v1, vcc_lo, v26, v1
	v_add_co_ci_u32_e32 v2, vcc_lo, v27, v2, vcc_lo
	v_add_co_u32 v1, vcc_lo, v1, v3
	v_add_co_ci_u32_e32 v2, vcc_lo, v2, v4, vcc_lo
	;; [unrolled: 2-line block ×4, first 2 shown]
	s_waitcnt vmcnt(1) lgkmcnt(6)
	v_mul_f16_sdwa v26, v9, v15 dst_sel:DWORD dst_unused:UNUSED_PAD src0_sel:DWORD src1_sel:WORD_1
	s_waitcnt vmcnt(0) lgkmcnt(5)
	v_mul_f16_sdwa v27, v21, v20 dst_sel:DWORD dst_unused:UNUSED_PAD src0_sel:DWORD src1_sel:WORD_1
	s_waitcnt lgkmcnt(1)
	v_mul_f16_sdwa v30, v25, v16 dst_sel:DWORD dst_unused:UNUSED_PAD src0_sel:DWORD src1_sel:WORD_1
	v_mul_f16_sdwa v31, v22, v19 dst_sel:DWORD dst_unused:UNUSED_PAD src0_sel:DWORD src1_sel:WORD_1
	;; [unrolled: 1-line block ×10, first 2 shown]
	v_fma_f16 v12, v12, v15, -v26
	v_fma_f16 v14, v14, v20, -v27
	v_fma_f16 v7, v7, v16, -v30
	v_fma_f16 v11, v11, v19, -v31
	v_fmac_f16_e32 v32, v20, v21
	v_fmac_f16_e32 v33, v15, v9
	;; [unrolled: 1-line block ×4, first 2 shown]
	v_fma_f16 v13, v13, v18, -v28
	v_fma_f16 v8, v8, v17, -v29
	v_fmac_f16_e32 v34, v17, v24
	v_fmac_f16_e32 v35, v18, v23
	v_sub_f16_e32 v9, v12, v14
	v_sub_f16_e32 v16, v7, v11
	v_add_f16_e32 v17, v33, v32
	v_add_f16_e32 v19, v37, v36
	;; [unrolled: 1-line block ×4, first 2 shown]
	v_sub_f16_e32 v15, v13, v8
	v_add_f16_e32 v18, v35, v34
	v_add_f16_e32 v8, v13, v8
	v_sub_f16_e32 v11, v33, v32
	v_sub_f16_e32 v13, v35, v34
	;; [unrolled: 1-line block ×3, first 2 shown]
	v_add_f16_e32 v24, v17, v19
	v_add_f16_e32 v27, v12, v7
	v_sub_f16_e32 v20, v9, v15
	v_sub_f16_e32 v21, v15, v16
	v_add_f16_e32 v15, v15, v16
	v_sub_f16_e32 v22, v17, v18
	v_sub_f16_e32 v23, v18, v19
	;; [unrolled: 1-line block ×6, first 2 shown]
	v_add_f16_e32 v13, v13, v14
	v_sub_f16_e32 v16, v16, v9
	v_add_f16_e32 v18, v18, v24
	v_add_f16_e32 v8, v8, v27
	v_sub_f16_e32 v7, v7, v12
	v_sub_f16_e32 v12, v14, v11
	;; [unrolled: 1-line block ×3, first 2 shown]
	v_mul_f16_e32 v14, 0xb846, v21
	v_mul_f16_e32 v19, 0x2b26, v23
	v_mul_f16_e32 v23, 0x2b26, v26
	v_mul_f16_e32 v24, 0xb846, v29
	v_add_f16_e32 v11, v11, v13
	v_mul_f16_e32 v13, 0x3b00, v16
	s_waitcnt lgkmcnt(0)
	v_add_f16_e32 v10, v10, v18
	v_add_f16_e32 v0, v0, v8
	;; [unrolled: 1-line block ×3, first 2 shown]
	v_mul_f16_e32 v15, 0x3a52, v22
	v_mul_f16_e32 v21, 0x3a52, v25
	;; [unrolled: 1-line block ×3, first 2 shown]
	v_fmamk_f16 v27, v20, 0x3574, v14
	v_fmamk_f16 v22, v22, 0x3a52, v19
	;; [unrolled: 1-line block ×4, first 2 shown]
	v_fma_f16 v13, v20, 0xb574, -v13
	v_fma_f16 v14, v16, 0x3b00, -v14
	v_fmamk_f16 v16, v18, 0xbcab, v10
	v_fmamk_f16 v8, v8, 0xbcab, v0
	v_fma_f16 v15, v17, 0xb9e0, -v15
	v_fma_f16 v20, v7, 0xb9e0, -v21
	v_fma_f16 v21, v28, 0xb574, -v26
	v_fma_f16 v12, v12, 0x3b00, -v24
	v_fma_f16 v17, v17, 0x39e0, -v19
	v_fma_f16 v7, v7, 0x39e0, -v23
	v_fmac_f16_e32 v27, 0x370e, v9
	v_fmac_f16_e32 v29, 0x370e, v11
	;; [unrolled: 1-line block ×4, first 2 shown]
	v_pack_b32_f16 v0, v0, v10
	v_add_f16_e32 v9, v22, v16
	v_add_f16_e32 v10, v25, v8
	v_fmac_f16_e32 v21, 0x370e, v11
	v_fmac_f16_e32 v12, 0x370e, v11
	v_add_f16_e32 v11, v15, v16
	v_add_f16_e32 v15, v20, v8
	;; [unrolled: 1-line block ×4, first 2 shown]
	global_store_dword v[1:2], v0, off
	v_add_f16_e32 v0, v27, v9
	v_sub_f16_e32 v8, v10, v29
	v_sub_f16_e32 v9, v9, v27
	v_add_f16_e32 v10, v29, v10
	v_add_f16_e32 v17, v13, v11
	v_sub_f16_e32 v11, v11, v13
	v_add_f16_e32 v13, v21, v15
	v_sub_f16_e32 v18, v16, v14
	;; [unrolled: 2-line block ×4, first 2 shown]
	v_pack_b32_f16 v9, v10, v9
	v_pack_b32_f16 v10, v13, v11
	;; [unrolled: 1-line block ×6, first 2 shown]
	global_store_dword v[1:2], v9, off offset:728
	global_store_dword v[1:2], v10, off offset:1456
	global_store_dword v[3:4], v11, off offset:136
	global_store_dword v[3:4], v7, off offset:864
	global_store_dword v[3:4], v12, off offset:1592
	global_store_dword v[5:6], v0, off offset:272
.LBB0_29:
	s_endpgm
	.section	.rodata,"a",@progbits
	.p2align	6, 0x0
	.amdhsa_kernel fft_rtc_fwd_len1274_factors_2_13_7_7_wgs_182_tpt_182_halfLds_half_op_CI_CI_unitstride_sbrr_dirReg
		.amdhsa_group_segment_fixed_size 0
		.amdhsa_private_segment_fixed_size 0
		.amdhsa_kernarg_size 104
		.amdhsa_user_sgpr_count 6
		.amdhsa_user_sgpr_private_segment_buffer 1
		.amdhsa_user_sgpr_dispatch_ptr 0
		.amdhsa_user_sgpr_queue_ptr 0
		.amdhsa_user_sgpr_kernarg_segment_ptr 1
		.amdhsa_user_sgpr_dispatch_id 0
		.amdhsa_user_sgpr_flat_scratch_init 0
		.amdhsa_user_sgpr_private_segment_size 0
		.amdhsa_wavefront_size32 1
		.amdhsa_uses_dynamic_stack 0
		.amdhsa_system_sgpr_private_segment_wavefront_offset 0
		.amdhsa_system_sgpr_workgroup_id_x 1
		.amdhsa_system_sgpr_workgroup_id_y 0
		.amdhsa_system_sgpr_workgroup_id_z 0
		.amdhsa_system_sgpr_workgroup_info 0
		.amdhsa_system_vgpr_workitem_id 0
		.amdhsa_next_free_vgpr 69
		.amdhsa_next_free_sgpr 27
		.amdhsa_reserve_vcc 1
		.amdhsa_reserve_flat_scratch 0
		.amdhsa_float_round_mode_32 0
		.amdhsa_float_round_mode_16_64 0
		.amdhsa_float_denorm_mode_32 3
		.amdhsa_float_denorm_mode_16_64 3
		.amdhsa_dx10_clamp 1
		.amdhsa_ieee_mode 1
		.amdhsa_fp16_overflow 0
		.amdhsa_workgroup_processor_mode 1
		.amdhsa_memory_ordered 1
		.amdhsa_forward_progress 0
		.amdhsa_shared_vgpr_count 0
		.amdhsa_exception_fp_ieee_invalid_op 0
		.amdhsa_exception_fp_denorm_src 0
		.amdhsa_exception_fp_ieee_div_zero 0
		.amdhsa_exception_fp_ieee_overflow 0
		.amdhsa_exception_fp_ieee_underflow 0
		.amdhsa_exception_fp_ieee_inexact 0
		.amdhsa_exception_int_div_zero 0
	.end_amdhsa_kernel
	.text
.Lfunc_end0:
	.size	fft_rtc_fwd_len1274_factors_2_13_7_7_wgs_182_tpt_182_halfLds_half_op_CI_CI_unitstride_sbrr_dirReg, .Lfunc_end0-fft_rtc_fwd_len1274_factors_2_13_7_7_wgs_182_tpt_182_halfLds_half_op_CI_CI_unitstride_sbrr_dirReg
                                        ; -- End function
	.section	.AMDGPU.csdata,"",@progbits
; Kernel info:
; codeLenInByte = 7728
; NumSgprs: 29
; NumVgprs: 69
; ScratchSize: 0
; MemoryBound: 0
; FloatMode: 240
; IeeeMode: 1
; LDSByteSize: 0 bytes/workgroup (compile time only)
; SGPRBlocks: 3
; VGPRBlocks: 8
; NumSGPRsForWavesPerEU: 29
; NumVGPRsForWavesPerEU: 69
; Occupancy: 12
; WaveLimiterHint : 1
; COMPUTE_PGM_RSRC2:SCRATCH_EN: 0
; COMPUTE_PGM_RSRC2:USER_SGPR: 6
; COMPUTE_PGM_RSRC2:TRAP_HANDLER: 0
; COMPUTE_PGM_RSRC2:TGID_X_EN: 1
; COMPUTE_PGM_RSRC2:TGID_Y_EN: 0
; COMPUTE_PGM_RSRC2:TGID_Z_EN: 0
; COMPUTE_PGM_RSRC2:TIDIG_COMP_CNT: 0
	.text
	.p2alignl 6, 3214868480
	.fill 48, 4, 3214868480
	.type	__hip_cuid_a9d00678634a0a98,@object ; @__hip_cuid_a9d00678634a0a98
	.section	.bss,"aw",@nobits
	.globl	__hip_cuid_a9d00678634a0a98
__hip_cuid_a9d00678634a0a98:
	.byte	0                               ; 0x0
	.size	__hip_cuid_a9d00678634a0a98, 1

	.ident	"AMD clang version 19.0.0git (https://github.com/RadeonOpenCompute/llvm-project roc-6.4.0 25133 c7fe45cf4b819c5991fe208aaa96edf142730f1d)"
	.section	".note.GNU-stack","",@progbits
	.addrsig
	.addrsig_sym __hip_cuid_a9d00678634a0a98
	.amdgpu_metadata
---
amdhsa.kernels:
  - .args:
      - .actual_access:  read_only
        .address_space:  global
        .offset:         0
        .size:           8
        .value_kind:     global_buffer
      - .offset:         8
        .size:           8
        .value_kind:     by_value
      - .actual_access:  read_only
        .address_space:  global
        .offset:         16
        .size:           8
        .value_kind:     global_buffer
      - .actual_access:  read_only
        .address_space:  global
        .offset:         24
        .size:           8
        .value_kind:     global_buffer
      - .actual_access:  read_only
        .address_space:  global
        .offset:         32
        .size:           8
        .value_kind:     global_buffer
      - .offset:         40
        .size:           8
        .value_kind:     by_value
      - .actual_access:  read_only
        .address_space:  global
        .offset:         48
        .size:           8
        .value_kind:     global_buffer
      - .actual_access:  read_only
        .address_space:  global
        .offset:         56
        .size:           8
        .value_kind:     global_buffer
      - .offset:         64
        .size:           4
        .value_kind:     by_value
      - .actual_access:  read_only
        .address_space:  global
        .offset:         72
        .size:           8
        .value_kind:     global_buffer
      - .actual_access:  read_only
        .address_space:  global
        .offset:         80
        .size:           8
        .value_kind:     global_buffer
      - .actual_access:  read_only
        .address_space:  global
        .offset:         88
        .size:           8
        .value_kind:     global_buffer
      - .actual_access:  write_only
        .address_space:  global
        .offset:         96
        .size:           8
        .value_kind:     global_buffer
    .group_segment_fixed_size: 0
    .kernarg_segment_align: 8
    .kernarg_segment_size: 104
    .language:       OpenCL C
    .language_version:
      - 2
      - 0
    .max_flat_workgroup_size: 182
    .name:           fft_rtc_fwd_len1274_factors_2_13_7_7_wgs_182_tpt_182_halfLds_half_op_CI_CI_unitstride_sbrr_dirReg
    .private_segment_fixed_size: 0
    .sgpr_count:     29
    .sgpr_spill_count: 0
    .symbol:         fft_rtc_fwd_len1274_factors_2_13_7_7_wgs_182_tpt_182_halfLds_half_op_CI_CI_unitstride_sbrr_dirReg.kd
    .uniform_work_group_size: 1
    .uses_dynamic_stack: false
    .vgpr_count:     69
    .vgpr_spill_count: 0
    .wavefront_size: 32
    .workgroup_processor_mode: 1
amdhsa.target:   amdgcn-amd-amdhsa--gfx1030
amdhsa.version:
  - 1
  - 2
...

	.end_amdgpu_metadata
